;; amdgpu-corpus repo=ROCm/rocFFT kind=compiled arch=gfx1030 opt=O3
	.text
	.amdgcn_target "amdgcn-amd-amdhsa--gfx1030"
	.amdhsa_code_object_version 6
	.protected	fft_rtc_back_len630_factors_3_3_5_7_2_wgs_63_tpt_63_halfLds_half_op_CI_CI_sbrr_dirReg ; -- Begin function fft_rtc_back_len630_factors_3_3_5_7_2_wgs_63_tpt_63_halfLds_half_op_CI_CI_sbrr_dirReg
	.globl	fft_rtc_back_len630_factors_3_3_5_7_2_wgs_63_tpt_63_halfLds_half_op_CI_CI_sbrr_dirReg
	.p2align	8
	.type	fft_rtc_back_len630_factors_3_3_5_7_2_wgs_63_tpt_63_halfLds_half_op_CI_CI_sbrr_dirReg,@function
fft_rtc_back_len630_factors_3_3_5_7_2_wgs_63_tpt_63_halfLds_half_op_CI_CI_sbrr_dirReg: ; @fft_rtc_back_len630_factors_3_3_5_7_2_wgs_63_tpt_63_halfLds_half_op_CI_CI_sbrr_dirReg
; %bb.0:
	s_clause 0x2
	s_load_dwordx4 s[16:19], s[4:5], 0x18
	s_load_dwordx4 s[12:15], s[4:5], 0x0
	;; [unrolled: 1-line block ×3, first 2 shown]
	v_mul_u32_u24_e32 v1, 0x411, v0
	v_mov_b32_e32 v3, 0
	v_mov_b32_e32 v10, 0
	;; [unrolled: 1-line block ×3, first 2 shown]
	s_waitcnt lgkmcnt(0)
	s_load_dwordx2 s[20:21], s[16:17], 0x0
	s_load_dwordx2 s[2:3], s[18:19], 0x0
	v_cmp_lt_u64_e64 s0, s[14:15], 2
	v_add_nc_u32_sdwa v7, s6, v1 dst_sel:DWORD dst_unused:UNUSED_PAD src0_sel:DWORD src1_sel:WORD_1
	v_mov_b32_e32 v8, v3
	s_and_b32 vcc_lo, exec_lo, s0
	s_cbranch_vccnz .LBB0_8
; %bb.1:
	s_load_dwordx2 s[0:1], s[4:5], 0x10
	v_mov_b32_e32 v10, 0
	v_mov_b32_e32 v11, 0
	s_add_u32 s6, s18, 8
	s_addc_u32 s7, s19, 0
	v_mov_b32_e32 v1, v10
	s_add_u32 s22, s16, 8
	v_mov_b32_e32 v2, v11
	s_addc_u32 s23, s17, 0
	s_mov_b64 s[26:27], 1
	s_waitcnt lgkmcnt(0)
	s_add_u32 s24, s0, 8
	s_addc_u32 s25, s1, 0
.LBB0_2:                                ; =>This Inner Loop Header: Depth=1
	s_load_dwordx2 s[28:29], s[24:25], 0x0
                                        ; implicit-def: $vgpr5_vgpr6
	s_mov_b32 s0, exec_lo
	s_waitcnt lgkmcnt(0)
	v_or_b32_e32 v4, s29, v8
	v_cmpx_ne_u64_e32 0, v[3:4]
	s_xor_b32 s1, exec_lo, s0
	s_cbranch_execz .LBB0_4
; %bb.3:                                ;   in Loop: Header=BB0_2 Depth=1
	v_cvt_f32_u32_e32 v4, s28
	v_cvt_f32_u32_e32 v5, s29
	s_sub_u32 s0, 0, s28
	s_subb_u32 s30, 0, s29
	v_fmac_f32_e32 v4, 0x4f800000, v5
	v_rcp_f32_e32 v4, v4
	v_mul_f32_e32 v4, 0x5f7ffffc, v4
	v_mul_f32_e32 v5, 0x2f800000, v4
	v_trunc_f32_e32 v5, v5
	v_fmac_f32_e32 v4, 0xcf800000, v5
	v_cvt_u32_f32_e32 v5, v5
	v_cvt_u32_f32_e32 v4, v4
	v_mul_lo_u32 v6, s0, v5
	v_mul_hi_u32 v9, s0, v4
	v_mul_lo_u32 v12, s30, v4
	v_add_nc_u32_e32 v6, v9, v6
	v_mul_lo_u32 v9, s0, v4
	v_add_nc_u32_e32 v6, v6, v12
	v_mul_hi_u32 v12, v4, v9
	v_mul_lo_u32 v13, v4, v6
	v_mul_hi_u32 v14, v4, v6
	v_mul_hi_u32 v15, v5, v9
	v_mul_lo_u32 v9, v5, v9
	v_mul_hi_u32 v16, v5, v6
	v_mul_lo_u32 v6, v5, v6
	v_add_co_u32 v12, vcc_lo, v12, v13
	v_add_co_ci_u32_e32 v13, vcc_lo, 0, v14, vcc_lo
	v_add_co_u32 v9, vcc_lo, v12, v9
	v_add_co_ci_u32_e32 v9, vcc_lo, v13, v15, vcc_lo
	v_add_co_ci_u32_e32 v12, vcc_lo, 0, v16, vcc_lo
	v_add_co_u32 v6, vcc_lo, v9, v6
	v_add_co_ci_u32_e32 v9, vcc_lo, 0, v12, vcc_lo
	v_add_co_u32 v4, vcc_lo, v4, v6
	v_add_co_ci_u32_e32 v5, vcc_lo, v5, v9, vcc_lo
	v_mul_hi_u32 v6, s0, v4
	v_mul_lo_u32 v12, s30, v4
	v_mul_lo_u32 v9, s0, v5
	v_add_nc_u32_e32 v6, v6, v9
	v_mul_lo_u32 v9, s0, v4
	v_add_nc_u32_e32 v6, v6, v12
	v_mul_hi_u32 v12, v4, v9
	v_mul_lo_u32 v13, v4, v6
	v_mul_hi_u32 v14, v4, v6
	v_mul_hi_u32 v15, v5, v9
	v_mul_lo_u32 v9, v5, v9
	v_mul_hi_u32 v16, v5, v6
	v_mul_lo_u32 v6, v5, v6
	v_add_co_u32 v12, vcc_lo, v12, v13
	v_add_co_ci_u32_e32 v13, vcc_lo, 0, v14, vcc_lo
	v_add_co_u32 v9, vcc_lo, v12, v9
	v_add_co_ci_u32_e32 v9, vcc_lo, v13, v15, vcc_lo
	v_add_co_ci_u32_e32 v12, vcc_lo, 0, v16, vcc_lo
	v_add_co_u32 v6, vcc_lo, v9, v6
	v_add_co_ci_u32_e32 v9, vcc_lo, 0, v12, vcc_lo
	v_add_co_u32 v6, vcc_lo, v4, v6
	v_add_co_ci_u32_e32 v9, vcc_lo, v5, v9, vcc_lo
	v_mul_hi_u32 v16, v7, v6
	v_mad_u64_u32 v[12:13], null, v8, v6, 0
	v_mad_u64_u32 v[4:5], null, v7, v9, 0
	v_mad_u64_u32 v[14:15], null, v8, v9, 0
	v_add_co_u32 v4, vcc_lo, v16, v4
	v_add_co_ci_u32_e32 v5, vcc_lo, 0, v5, vcc_lo
	v_add_co_u32 v4, vcc_lo, v4, v12
	v_add_co_ci_u32_e32 v4, vcc_lo, v5, v13, vcc_lo
	v_add_co_ci_u32_e32 v5, vcc_lo, 0, v15, vcc_lo
	v_add_co_u32 v9, vcc_lo, v4, v14
	v_add_co_ci_u32_e32 v6, vcc_lo, 0, v5, vcc_lo
	v_mul_lo_u32 v12, s29, v9
	v_mad_u64_u32 v[4:5], null, s28, v9, 0
	v_mul_lo_u32 v13, s28, v6
	v_sub_co_u32 v4, vcc_lo, v7, v4
	v_add3_u32 v5, v5, v13, v12
	v_sub_nc_u32_e32 v12, v8, v5
	v_subrev_co_ci_u32_e64 v12, s0, s29, v12, vcc_lo
	v_add_co_u32 v13, s0, v9, 2
	v_add_co_ci_u32_e64 v14, s0, 0, v6, s0
	v_sub_co_u32 v15, s0, v4, s28
	v_sub_co_ci_u32_e32 v5, vcc_lo, v8, v5, vcc_lo
	v_subrev_co_ci_u32_e64 v12, s0, 0, v12, s0
	v_cmp_le_u32_e32 vcc_lo, s28, v15
	v_cmp_eq_u32_e64 s0, s29, v5
	v_cndmask_b32_e64 v15, 0, -1, vcc_lo
	v_cmp_le_u32_e32 vcc_lo, s29, v12
	v_cndmask_b32_e64 v16, 0, -1, vcc_lo
	v_cmp_le_u32_e32 vcc_lo, s28, v4
	;; [unrolled: 2-line block ×3, first 2 shown]
	v_cndmask_b32_e64 v17, 0, -1, vcc_lo
	v_cmp_eq_u32_e32 vcc_lo, s29, v12
	v_cndmask_b32_e64 v4, v17, v4, s0
	v_cndmask_b32_e32 v12, v16, v15, vcc_lo
	v_add_co_u32 v15, vcc_lo, v9, 1
	v_add_co_ci_u32_e32 v16, vcc_lo, 0, v6, vcc_lo
	v_cmp_ne_u32_e32 vcc_lo, 0, v12
	v_cndmask_b32_e32 v5, v16, v14, vcc_lo
	v_cndmask_b32_e32 v12, v15, v13, vcc_lo
	v_cmp_ne_u32_e32 vcc_lo, 0, v4
	v_cndmask_b32_e32 v6, v6, v5, vcc_lo
	v_cndmask_b32_e32 v5, v9, v12, vcc_lo
.LBB0_4:                                ;   in Loop: Header=BB0_2 Depth=1
	s_andn2_saveexec_b32 s0, s1
	s_cbranch_execz .LBB0_6
; %bb.5:                                ;   in Loop: Header=BB0_2 Depth=1
	v_cvt_f32_u32_e32 v4, s28
	s_sub_i32 s1, 0, s28
	v_rcp_iflag_f32_e32 v4, v4
	v_mul_f32_e32 v4, 0x4f7ffffe, v4
	v_cvt_u32_f32_e32 v4, v4
	v_mul_lo_u32 v5, s1, v4
	v_mul_hi_u32 v5, v4, v5
	v_add_nc_u32_e32 v4, v4, v5
	v_mul_hi_u32 v4, v7, v4
	v_mul_lo_u32 v5, v4, s28
	v_add_nc_u32_e32 v6, 1, v4
	v_sub_nc_u32_e32 v5, v7, v5
	v_subrev_nc_u32_e32 v9, s28, v5
	v_cmp_le_u32_e32 vcc_lo, s28, v5
	v_cndmask_b32_e32 v5, v5, v9, vcc_lo
	v_cndmask_b32_e32 v4, v4, v6, vcc_lo
	v_cmp_le_u32_e32 vcc_lo, s28, v5
	v_add_nc_u32_e32 v6, 1, v4
	v_cndmask_b32_e32 v5, v4, v6, vcc_lo
	v_mov_b32_e32 v6, v3
.LBB0_6:                                ;   in Loop: Header=BB0_2 Depth=1
	s_or_b32 exec_lo, exec_lo, s0
	v_mul_lo_u32 v4, v6, s28
	v_mul_lo_u32 v9, v5, s29
	s_load_dwordx2 s[0:1], s[22:23], 0x0
	v_mad_u64_u32 v[12:13], null, v5, s28, 0
	s_load_dwordx2 s[28:29], s[6:7], 0x0
	s_add_u32 s26, s26, 1
	s_addc_u32 s27, s27, 0
	s_add_u32 s6, s6, 8
	s_addc_u32 s7, s7, 0
	s_add_u32 s22, s22, 8
	v_add3_u32 v4, v13, v9, v4
	v_sub_co_u32 v7, vcc_lo, v7, v12
	s_addc_u32 s23, s23, 0
	s_add_u32 s24, s24, 8
	v_sub_co_ci_u32_e32 v4, vcc_lo, v8, v4, vcc_lo
	s_addc_u32 s25, s25, 0
	s_waitcnt lgkmcnt(0)
	v_mul_lo_u32 v8, s0, v4
	v_mul_lo_u32 v9, s1, v7
	v_mad_u64_u32 v[10:11], null, s0, v7, v[10:11]
	v_mul_lo_u32 v4, s28, v4
	v_mul_lo_u32 v12, s29, v7
	v_mad_u64_u32 v[1:2], null, s28, v7, v[1:2]
	v_cmp_ge_u64_e64 s0, s[26:27], s[14:15]
	v_add3_u32 v11, v9, v11, v8
	v_add3_u32 v2, v12, v2, v4
	s_and_b32 vcc_lo, exec_lo, s0
	s_cbranch_vccnz .LBB0_9
; %bb.7:                                ;   in Loop: Header=BB0_2 Depth=1
	v_mov_b32_e32 v8, v6
	v_mov_b32_e32 v7, v5
	s_branch .LBB0_2
.LBB0_8:
	v_mov_b32_e32 v1, v10
	v_mov_b32_e32 v5, v7
	;; [unrolled: 1-line block ×4, first 2 shown]
.LBB0_9:
	s_load_dwordx2 s[0:1], s[4:5], 0x28
	v_mul_hi_u32 v14, 0x4104105, v0
	s_lshl_b64 s[6:7], s[14:15], 3
                                        ; implicit-def: $vgpr3
                                        ; implicit-def: $vgpr7
                                        ; implicit-def: $vgpr9
	s_add_u32 s4, s18, s6
	s_addc_u32 s5, s19, s7
	s_waitcnt lgkmcnt(0)
	v_cmp_gt_u64_e32 vcc_lo, s[0:1], v[5:6]
	v_cmp_le_u64_e64 s0, s[0:1], v[5:6]
	s_and_saveexec_b32 s1, s0
	s_xor_b32 s0, exec_lo, s1
; %bb.10:
	v_mul_u32_u24_e32 v3, 63, v14
                                        ; implicit-def: $vgpr14
                                        ; implicit-def: $vgpr10_vgpr11
	v_sub_nc_u32_e32 v3, v0, v3
                                        ; implicit-def: $vgpr0
	v_add_nc_u32_e32 v7, 63, v3
	v_add_nc_u32_e32 v9, 0x7e, v3
; %bb.11:
	s_or_saveexec_b32 s1, s0
	s_load_dwordx2 s[4:5], s[4:5], 0x0
                                        ; implicit-def: $vgpr22
                                        ; implicit-def: $vgpr16
                                        ; implicit-def: $vgpr40
                                        ; implicit-def: $vgpr17
                                        ; implicit-def: $vgpr37
                                        ; implicit-def: $vgpr19
                                        ; implicit-def: $vgpr32
                                        ; implicit-def: $vgpr15
                                        ; implicit-def: $vgpr39
                                        ; implicit-def: $vgpr20
                                        ; implicit-def: $vgpr38
                                        ; implicit-def: $vgpr21
                                        ; implicit-def: $vgpr34
                                        ; implicit-def: $vgpr18
                                        ; implicit-def: $vgpr36
                                        ; implicit-def: $vgpr4
                                        ; implicit-def: $vgpr35
                                        ; implicit-def: $vgpr12
                                        ; implicit-def: $vgpr13
                                        ; implicit-def: $vgpr8
                                        ; implicit-def: $vgpr30
                                        ; implicit-def: $vgpr31
                                        ; implicit-def: $vgpr33
                                        ; implicit-def: $vgpr29
	s_xor_b32 exec_lo, exec_lo, s1
	s_cbranch_execz .LBB0_15
; %bb.12:
	s_add_u32 s6, s16, s6
	s_addc_u32 s7, s17, s7
	v_mul_u32_u24_e32 v3, 63, v14
	s_load_dwordx2 s[6:7], s[6:7], 0x0
	v_lshlrev_b64 v[10:11], 2, v[10:11]
	v_sub_nc_u32_e32 v3, v0, v3
	v_mad_u64_u32 v[8:9], null, s20, v3, 0
	v_add_nc_u32_e32 v22, 0xd2, v3
	v_add_nc_u32_e32 v23, 0x1a4, v3
	;; [unrolled: 1-line block ×4, first 2 shown]
	v_mad_u64_u32 v[12:13], null, s20, v22, 0
	v_mov_b32_e32 v0, v9
	v_mad_u64_u32 v[14:15], null, s20, v23, 0
	s_waitcnt lgkmcnt(0)
	v_mul_lo_u32 v9, s7, v5
	v_mul_lo_u32 v24, s6, v6
	v_mad_u64_u32 v[18:19], null, s6, v5, 0
	v_mad_u64_u32 v[16:17], null, s20, v7, 0
	;; [unrolled: 1-line block ×3, first 2 shown]
	v_mov_b32_e32 v0, v13
	v_mov_b32_e32 v4, v15
	v_add3_u32 v19, v19, v24, v9
	s_mov_b32 s6, exec_lo
	v_mov_b32_e32 v13, v17
	v_mad_u64_u32 v[21:22], null, s21, v22, v[0:1]
	v_lshlrev_b64 v[17:18], 2, v[18:19]
	v_mad_u64_u32 v[22:23], null, s21, v23, v[4:5]
	v_mov_b32_e32 v9, v20
	v_mad_u64_u32 v[19:20], null, s21, v7, v[13:14]
	v_add_co_u32 v0, s0, s8, v17
	v_lshlrev_b64 v[8:9], 2, v[8:9]
	v_add_co_ci_u32_e64 v4, s0, s9, v18, s0
	v_add_co_u32 v0, s0, v0, v10
	v_mov_b32_e32 v15, v22
	v_mad_u64_u32 v[22:23], null, s20, v25, 0
	v_add_co_ci_u32_e64 v10, s0, v4, v11, s0
	v_add_co_u32 v20, s0, v0, v8
	v_add_nc_u32_e32 v8, 0x1e3, v3
	v_mov_b32_e32 v13, v21
	v_mov_b32_e32 v4, v23
	v_add_co_ci_u32_e64 v21, s0, v10, v9, s0
	v_mov_b32_e32 v17, v19
	v_add_nc_u32_e32 v9, 0x7e, v3
	v_mad_u64_u32 v[18:19], null, s20, v8, 0
	v_mad_u64_u32 v[23:24], null, s21, v25, v[4:5]
	;; [unrolled: 1-line block ×3, first 2 shown]
	v_lshlrev_b64 v[11:12], 2, v[12:13]
	v_lshlrev_b64 v[13:14], 2, v[14:15]
	v_mov_b32_e32 v4, v19
	v_lshlrev_b64 v[15:16], 2, v[16:17]
	v_add_nc_u32_e32 v17, 0x150, v3
	v_add_co_u32 v11, s0, v0, v11
	v_mad_u64_u32 v[26:27], null, s21, v8, v[4:5]
	v_mov_b32_e32 v4, v25
	v_add_nc_u32_e32 v8, 0x222, v3
	v_mad_u64_u32 v[27:28], null, s20, v17, 0
	v_add_co_ci_u32_e64 v12, s0, v10, v12, s0
	v_mad_u64_u32 v[29:30], null, s21, v9, v[4:5]
	v_add_co_u32 v13, s0, v0, v13
	v_mad_u64_u32 v[30:31], null, s20, v8, 0
	v_add_co_ci_u32_e64 v14, s0, v10, v14, s0
	v_add_co_u32 v32, s0, v0, v15
	v_mov_b32_e32 v4, v28
	v_add_co_ci_u32_e64 v33, s0, v10, v16, s0
	v_lshlrev_b64 v[15:16], 2, v[22:23]
	v_mov_b32_e32 v19, v26
	v_mad_u64_u32 v[22:23], null, s21, v17, v[4:5]
	v_mov_b32_e32 v4, v31
	v_mov_b32_e32 v25, v29
	v_add_co_u32 v34, s0, v0, v15
	v_add_co_ci_u32_e64 v35, s0, v10, v16, s0
	v_lshlrev_b64 v[15:16], 2, v[18:19]
	v_mad_u64_u32 v[17:18], null, s21, v8, v[4:5]
	v_mov_b32_e32 v28, v22
	v_lshlrev_b64 v[18:19], 2, v[24:25]
                                        ; implicit-def: $vgpr8
	v_add_co_u32 v22, s0, v0, v15
	v_add_co_ci_u32_e64 v23, s0, v10, v16, s0
	v_mov_b32_e32 v31, v17
	v_lshlrev_b64 v[15:16], 2, v[27:28]
	v_add_co_u32 v24, s0, v0, v18
	v_add_co_ci_u32_e64 v25, s0, v10, v19, s0
	v_lshlrev_b64 v[17:18], 2, v[30:31]
	v_add_co_u32 v26, s0, v0, v15
	v_add_co_ci_u32_e64 v27, s0, v10, v16, s0
                                        ; implicit-def: $vgpr31
                                        ; implicit-def: $vgpr30
	v_add_co_u32 v28, s0, v0, v17
	v_add_co_ci_u32_e64 v29, s0, v10, v18, s0
	s_clause 0x8
	global_load_dword v16, v[20:21], off
	global_load_dword v17, v[11:12], off
	;; [unrolled: 1-line block ×9, first 2 shown]
                                        ; implicit-def: $vgpr29
                                        ; implicit-def: $vgpr33
                                        ; implicit-def: $vgpr13
	v_cmpx_gt_u32_e32 21, v3
	s_cbranch_execz .LBB0_14
; %bb.13:
	v_add_nc_u32_e32 v26, 0xbd, v3
	v_add_nc_u32_e32 v27, 0x18f, v3
	;; [unrolled: 1-line block ×3, first 2 shown]
	v_mad_u64_u32 v[13:14], null, s20, v26, 0
	v_mad_u64_u32 v[22:23], null, s20, v27, 0
	;; [unrolled: 1-line block ×3, first 2 shown]
	v_mov_b32_e32 v8, v14
	v_mov_b32_e32 v11, v23
	;; [unrolled: 1-line block ×3, first 2 shown]
	v_mad_u64_u32 v[25:26], null, s21, v26, v[8:9]
	s_waitcnt vmcnt(0)
	v_mad_u64_u32 v[26:27], null, s21, v27, v[11:12]
	v_mad_u64_u32 v[27:28], null, s21, v28, v[14:15]
	v_mov_b32_e32 v14, v25
	v_mov_b32_e32 v23, v26
	;; [unrolled: 1-line block ×3, first 2 shown]
	v_lshlrev_b64 v[13:14], 2, v[13:14]
	v_lshlrev_b64 v[22:23], 2, v[22:23]
	;; [unrolled: 1-line block ×3, first 2 shown]
	v_add_co_u32 v13, s0, v0, v13
	v_add_co_ci_u32_e64 v14, s0, v10, v14, s0
	v_add_co_u32 v22, s0, v0, v22
	v_add_co_ci_u32_e64 v23, s0, v10, v23, s0
	;; [unrolled: 2-line block ×3, first 2 shown]
	s_clause 0x2
	global_load_dword v8, v[13:14], off
	global_load_dword v29, v[22:23], off
	;; [unrolled: 1-line block ×3, first 2 shown]
	s_waitcnt vmcnt(2)
	v_lshrrev_b32_e32 v13, 16, v8
	s_waitcnt vmcnt(1)
	v_lshrrev_b32_e32 v33, 16, v29
	;; [unrolled: 2-line block ×3, first 2 shown]
.LBB0_14:
	s_or_b32 exec_lo, exec_lo, s6
	s_waitcnt vmcnt(8)
	v_lshrrev_b32_e32 v22, 16, v16
	s_waitcnt vmcnt(7)
	v_lshrrev_b32_e32 v40, 16, v17
	;; [unrolled: 2-line block ×9, first 2 shown]
.LBB0_15:
	s_or_b32 exec_lo, exec_lo, s1
	v_add_f16_e32 v0, v17, v19
	v_add_f16_e32 v10, v16, v17
	v_sub_f16_e32 v11, v40, v37
	v_add_f16_e32 v14, v20, v21
	v_sub_f16_e32 v23, v39, v38
	v_fmac_f16_e32 v16, -0.5, v0
	v_add_f16_e32 v0, v15, v20
	v_add_f16_e32 v24, v10, v19
	v_fmac_f16_e32 v15, -0.5, v14
	v_add_f16_e32 v10, v4, v12
	v_fmamk_f16 v25, v11, 0xbaee, v16
	v_fmac_f16_e32 v16, 0x3aee, v11
	v_add_f16_e32 v11, v18, v4
	v_add_f16_e32 v14, v31, v29
	v_fmamk_f16 v26, v23, 0xbaee, v15
	v_fmac_f16_e32 v15, 0x3aee, v23
	v_fmac_f16_e32 v18, -0.5, v10
	v_sub_f16_e32 v10, v36, v35
	v_add_f16_e32 v23, v11, v12
	v_add_f16_e32 v11, v8, v29
	v_fmac_f16_e32 v8, -0.5, v14
	v_sub_f16_e32 v27, v33, v30
	v_add_f16_e32 v0, v0, v21
	v_fmamk_f16 v28, v10, 0xbaee, v18
	v_fmac_f16_e32 v18, 0x3aee, v10
	v_mad_u32_u24 v41, v3, 6, 0
	v_add_f16_e32 v14, v31, v11
	v_fmamk_f16 v10, v27, 0xbaee, v8
	v_fmac_f16_e32 v8, 0x3aee, v27
	v_mad_i32_i24 v11, v7, 6, 0
	v_mad_i32_i24 v42, v9, 6, 0
	v_cmp_gt_u32_e64 s0, 21, v3
	ds_write_b16 v41, v24
	ds_write_b16 v41, v25 offset:2
	ds_write_b16 v41, v16 offset:4
	ds_write_b16 v11, v0
	ds_write_b16 v11, v26 offset:2
	ds_write_b16 v11, v15 offset:4
	;; [unrolled: 3-line block ×3, first 2 shown]
	s_and_saveexec_b32 s1, s0
	s_cbranch_execz .LBB0_17
; %bb.16:
	ds_write_b16 v41, v14 offset:1134
	ds_write_b16 v41, v10 offset:1136
	;; [unrolled: 1-line block ×3, first 2 shown]
.LBB0_17:
	s_or_b32 exec_lo, exec_lo, s1
	v_lshlrev_b32_e32 v0, 2, v3
	v_lshlrev_b32_e32 v43, 2, v7
	;; [unrolled: 1-line block ×3, first 2 shown]
	s_waitcnt lgkmcnt(0)
	s_barrier
	v_sub_nc_u32_e32 v0, v41, v0
	v_sub_nc_u32_e32 v18, v11, v43
	v_sub_nc_u32_e32 v15, v42, v44
	buffer_gl0_inv
	ds_read_u16 v16, v0
	ds_read_u16 v26, v0 offset:420
	ds_read_u16 v25, v0 offset:546
	;; [unrolled: 1-line block ×3, first 2 shown]
	ds_read_u16 v15, v15
	ds_read_u16 v18, v18
	ds_read_u16 v24, v0 offset:1092
	ds_read_u16 v28, v0 offset:840
	;; [unrolled: 1-line block ×3, first 2 shown]
	s_and_saveexec_b32 s1, s0
	s_cbranch_execz .LBB0_19
; %bb.18:
	ds_read_u16 v14, v0 offset:378
	ds_read_u16 v10, v0 offset:798
	;; [unrolled: 1-line block ×3, first 2 shown]
.LBB0_19:
	s_or_b32 exec_lo, exec_lo, s1
	v_add_f16_e32 v45, v40, v37
	v_add_f16_e32 v46, v22, v40
	v_sub_nc_u32_e32 v40, 0, v44
	v_add_f16_e32 v44, v39, v38
	v_sub_f16_e32 v17, v17, v19
	v_sub_f16_e32 v20, v20, v21
	v_add_f16_e32 v19, v46, v37
	v_add_f16_e32 v37, v32, v39
	v_fmac_f16_e32 v32, -0.5, v44
	v_fmac_f16_e32 v22, -0.5, v45
	v_sub_f16_e32 v4, v4, v12
	v_add_f16_e32 v12, v13, v33
	v_add_f16_e32 v37, v37, v38
	v_fmamk_f16 v38, v20, 0x3aee, v32
	v_fmac_f16_e32 v32, 0xbaee, v20
	v_add_f16_e32 v20, v30, v33
	v_fmamk_f16 v21, v17, 0x3aee, v22
	v_fmac_f16_e32 v22, 0xbaee, v17
	v_add_f16_e32 v17, v36, v35
	v_sub_nc_u32_e32 v43, 0, v43
	v_fmac_f16_e32 v13, -0.5, v20
	v_sub_f16_e32 v20, v29, v31
	v_add_f16_e32 v36, v34, v36
	v_fmac_f16_e32 v34, -0.5, v17
	v_add_f16_e32 v17, v30, v12
	s_waitcnt lgkmcnt(0)
	v_fmamk_f16 v31, v20, 0x3aee, v13
	v_fmac_f16_e32 v13, 0xbaee, v20
	v_add_f16_e32 v29, v36, v35
	v_fmamk_f16 v33, v4, 0x3aee, v34
	v_fmac_f16_e32 v34, 0xbaee, v4
	s_barrier
	buffer_gl0_inv
	ds_write_b16 v41, v19
	ds_write_b16 v41, v21 offset:2
	ds_write_b16 v41, v22 offset:4
	ds_write_b16 v11, v37
	ds_write_b16 v11, v38 offset:2
	ds_write_b16 v11, v32 offset:4
	ds_write_b16 v42, v29
	ds_write_b16 v42, v33 offset:2
	ds_write_b16 v42, v34 offset:4
	s_and_saveexec_b32 s1, s0
	s_cbranch_execz .LBB0_21
; %bb.20:
	ds_write_b16 v41, v17 offset:1134
	ds_write_b16 v41, v31 offset:1136
	;; [unrolled: 1-line block ×3, first 2 shown]
.LBB0_21:
	s_or_b32 exec_lo, exec_lo, s1
	v_add_nc_u32_e32 v12, v42, v40
	s_waitcnt lgkmcnt(0)
	s_barrier
	buffer_gl0_inv
	v_add_nc_u32_e32 v11, v11, v43
	ds_read_u16 v21, v0
	ds_read_u16 v35, v0 offset:420
	ds_read_u16 v34, v0 offset:546
	;; [unrolled: 1-line block ×3, first 2 shown]
	ds_read_u16 v20, v12
	ds_read_u16 v22, v11
	ds_read_u16 v32, v0 offset:1092
	ds_read_u16 v37, v0 offset:840
	ds_read_u16 v36, v0 offset:672
	s_and_saveexec_b32 s1, s0
	s_cbranch_execz .LBB0_23
; %bb.22:
	ds_read_u16 v17, v0 offset:378
	ds_read_u16 v31, v0 offset:798
	ds_read_u16 v13, v0 offset:1218
.LBB0_23:
	s_or_b32 exec_lo, exec_lo, s1
	v_and_b32_e32 v19, 0xff, v3
	v_and_b32_e32 v4, 0xff, v7
	;; [unrolled: 1-line block ×3, first 2 shown]
	v_add_nc_u16 v41, v3, 0xbd
	v_mov_b32_e32 v40, 3
	v_mul_lo_u16 v29, 0xab, v19
	v_mul_lo_u16 v38, 0xab, v4
	v_mov_b32_e32 v45, 1
	v_lshrrev_b16 v39, 9, v29
	v_mul_lo_u16 v29, 0xab, v30
	v_lshrrev_b16 v38, 9, v38
	v_mul_lo_u16 v30, v39, 3
	;; [unrolled: 2-line block ×3, first 2 shown]
	v_sub_nc_u16 v43, v3, v30
	v_and_b32_e32 v30, 0xff, v41
	v_mul_lo_u16 v44, v42, 3
	v_sub_nc_u16 v46, v7, v29
	v_lshlrev_b32_sdwa v29, v40, v43 dst_sel:DWORD dst_unused:UNUSED_PAD src0_sel:DWORD src1_sel:BYTE_0
	v_mul_lo_u16 v30, 0xab, v30
	v_sub_nc_u16 v47, v9, v44
	v_lshlrev_b32_sdwa v44, v40, v46 dst_sel:DWORD dst_unused:UNUSED_PAD src0_sel:DWORD src1_sel:BYTE_0
	s_clause 0x1
	global_load_dwordx2 v[49:50], v29, s[12:13]
	global_load_dwordx2 v[51:52], v44, s[12:13]
	v_lshrrev_b16 v29, 9, v30
	v_lshlrev_b32_sdwa v30, v40, v47 dst_sel:DWORD dst_unused:UNUSED_PAD src0_sel:DWORD src1_sel:BYTE_0
	v_mul_lo_u16 v44, v29, 3
	global_load_dwordx2 v[53:54], v30, s[12:13]
	v_sub_nc_u16 v30, v41, v44
	v_mov_b32_e32 v44, 18
	v_lshlrev_b32_sdwa v40, v40, v30 dst_sel:DWORD dst_unused:UNUSED_PAD src0_sel:DWORD src1_sel:BYTE_0
	v_mul_u32_u24_sdwa v39, v39, v44 dst_sel:DWORD dst_unused:UNUSED_PAD src0_sel:WORD_0 src1_sel:DWORD
	v_mul_u32_u24_sdwa v38, v38, v44 dst_sel:DWORD dst_unused:UNUSED_PAD src0_sel:WORD_0 src1_sel:DWORD
	;; [unrolled: 1-line block ×3, first 2 shown]
	v_lshlrev_b32_sdwa v42, v45, v46 dst_sel:DWORD dst_unused:UNUSED_PAD src0_sel:DWORD src1_sel:BYTE_0
	global_load_dwordx2 v[55:56], v40, s[12:13]
	v_lshlrev_b32_sdwa v40, v45, v43 dst_sel:DWORD dst_unused:UNUSED_PAD src0_sel:DWORD src1_sel:BYTE_0
	v_lshlrev_b32_sdwa v43, v45, v47 dst_sel:DWORD dst_unused:UNUSED_PAD src0_sel:DWORD src1_sel:BYTE_0
	s_waitcnt vmcnt(0) lgkmcnt(0)
	s_barrier
	buffer_gl0_inv
	v_add3_u32 v40, 0, v39, v40
	v_add3_u32 v39, 0, v38, v42
	;; [unrolled: 1-line block ×3, first 2 shown]
	v_mul_f16_sdwa v47, v35, v49 dst_sel:DWORD dst_unused:UNUSED_PAD src0_sel:DWORD src1_sel:WORD_1
	v_mul_f16_sdwa v58, v28, v50 dst_sel:DWORD dst_unused:UNUSED_PAD src0_sel:DWORD src1_sel:WORD_1
	;; [unrolled: 1-line block ×8, first 2 shown]
	v_fmac_f16_e32 v47, v26, v49
	v_fma_f16 v26, v37, v50, -v58
	v_mul_f16_sdwa v41, v36, v53 dst_sel:DWORD dst_unused:UNUSED_PAD src0_sel:DWORD src1_sel:WORD_1
	v_mul_f16_sdwa v42, v32, v54 dst_sel:DWORD dst_unused:UNUSED_PAD src0_sel:DWORD src1_sel:WORD_1
	v_fmac_f16_e32 v43, v25, v51
	v_fma_f16 v25, v33, v52, -v60
	v_mul_f16_sdwa v61, v27, v53 dst_sel:DWORD dst_unused:UNUSED_PAD src0_sel:DWORD src1_sel:WORD_1
	v_mul_f16_sdwa v62, v24, v54 dst_sel:DWORD dst_unused:UNUSED_PAD src0_sel:DWORD src1_sel:WORD_1
	v_fmac_f16_e32 v48, v28, v50
	v_fmac_f16_e32 v46, v23, v52
	;; [unrolled: 1-line block ×4, first 2 shown]
	v_fma_f16 v35, v35, v49, -v57
	v_fma_f16 v23, v36, v53, -v61
	v_fma_f16 v36, v32, v54, -v62
	v_add_f16_e32 v49, v15, v41
	v_mul_f16_sdwa v33, v31, v55 dst_sel:DWORD dst_unused:UNUSED_PAD src0_sel:DWORD src1_sel:WORD_1
	v_mul_f16_sdwa v37, v13, v56 dst_sel:DWORD dst_unused:UNUSED_PAD src0_sel:DWORD src1_sel:WORD_1
	;; [unrolled: 1-line block ×4, first 2 shown]
	v_fma_f16 v28, v34, v51, -v59
	v_fmac_f16_e32 v33, v10, v55
	v_fmac_f16_e32 v37, v8, v56
	v_add_f16_e32 v8, v16, v47
	v_fma_f16 v32, v31, v55, -v24
	v_fma_f16 v24, v13, v56, -v27
	v_add_f16_e32 v10, v47, v48
	v_add_f16_e32 v31, v43, v46
	;; [unrolled: 1-line block ×4, first 2 shown]
	v_sub_f16_e32 v13, v35, v26
	v_add_f16_e32 v27, v18, v43
	v_add_f16_e32 v50, v41, v42
	v_fmac_f16_e32 v16, -0.5, v10
	v_fmac_f16_e32 v18, -0.5, v31
	v_add_f16_e32 v31, v49, v42
	v_sub_f16_e32 v49, v32, v24
	v_fma_f16 v8, -0.5, v8, v14
	v_sub_f16_e32 v34, v28, v25
	v_sub_f16_e32 v51, v23, v36
	v_fmac_f16_e32 v15, -0.5, v50
	v_fmamk_f16 v50, v13, 0xbaee, v16
	v_fmamk_f16 v10, v49, 0xbaee, v8
	v_fmac_f16_e32 v8, 0x3aee, v49
	v_fmac_f16_e32 v16, 0x3aee, v13
	v_add_f16_e32 v27, v27, v46
	v_fmamk_f16 v13, v34, 0xbaee, v18
	v_fmac_f16_e32 v18, 0x3aee, v34
	v_fmamk_f16 v34, v51, 0xbaee, v15
	v_fmac_f16_e32 v15, 0x3aee, v51
	ds_write_b16 v40, v52
	ds_write_b16 v40, v50 offset:6
	ds_write_b16 v40, v16 offset:12
	ds_write_b16 v39, v27
	ds_write_b16 v39, v13 offset:6
	ds_write_b16 v39, v18 offset:12
	;; [unrolled: 3-line block ×3, first 2 shown]
	s_and_saveexec_b32 s1, s0
	s_cbranch_execz .LBB0_25
; %bb.24:
	v_add_f16_e32 v13, v14, v33
	v_mul_u32_u24_sdwa v14, v29, v44 dst_sel:DWORD dst_unused:UNUSED_PAD src0_sel:WORD_0 src1_sel:DWORD
	v_lshlrev_b32_sdwa v15, v45, v30 dst_sel:DWORD dst_unused:UNUSED_PAD src0_sel:DWORD src1_sel:BYTE_0
	v_add_f16_e32 v13, v13, v37
	v_add3_u32 v14, 0, v14, v15
	ds_write_b16 v14, v13
	ds_write_b16 v14, v10 offset:6
	ds_write_b16 v14, v8 offset:12
.LBB0_25:
	s_or_b32 exec_lo, exec_lo, s1
	v_add_f16_e32 v13, v35, v26
	v_add_f16_e32 v14, v21, v35
	;; [unrolled: 1-line block ×3, first 2 shown]
	v_sub_f16_e32 v43, v43, v46
	v_sub_f16_e32 v15, v47, v48
	v_fmac_f16_e32 v21, -0.5, v13
	v_add_f16_e32 v13, v22, v28
	v_add_f16_e32 v44, v14, v26
	;; [unrolled: 1-line block ×3, first 2 shown]
	v_fmac_f16_e32 v22, -0.5, v16
	v_add_f16_e32 v16, v20, v23
	v_add_f16_e32 v46, v13, v25
	;; [unrolled: 1-line block ×3, first 2 shown]
	v_fmac_f16_e32 v20, -0.5, v14
	v_fmamk_f16 v45, v15, 0x3aee, v21
	v_fmac_f16_e32 v21, 0xbaee, v15
	s_waitcnt lgkmcnt(0)
	v_fma_f16 v14, -0.5, v13, v17
	v_lshl_add_u32 v13, v3, 1, 0
	s_barrier
	buffer_gl0_inv
	ds_read_u16 v26, v12
	ds_read_u16 v15, v11
	;; [unrolled: 1-line block ×3, first 2 shown]
	ds_read_u16 v25, v0 offset:378
	ds_read_u16 v31, v13 offset:504
	;; [unrolled: 1-line block ×7, first 2 shown]
	v_sub_f16_e32 v33, v33, v37
	v_sub_f16_e32 v41, v41, v42
	v_add_f16_e32 v36, v16, v36
	v_fmamk_f16 v47, v43, 0x3aee, v22
	v_fmac_f16_e32 v22, 0xbaee, v43
	v_fmamk_f16 v16, v33, 0x3aee, v14
	v_fmac_f16_e32 v14, 0xbaee, v33
	;; [unrolled: 2-line block ×3, first 2 shown]
	s_waitcnt lgkmcnt(0)
	s_barrier
	buffer_gl0_inv
	ds_write_b16 v40, v44
	ds_write_b16 v40, v45 offset:6
	ds_write_b16 v40, v21 offset:12
	ds_write_b16 v39, v46
	ds_write_b16 v39, v47 offset:6
	ds_write_b16 v39, v22 offset:12
	;; [unrolled: 3-line block ×3, first 2 shown]
	s_and_saveexec_b32 s1, s0
	s_cbranch_execz .LBB0_27
; %bb.26:
	v_mov_b32_e32 v20, 18
	v_mov_b32_e32 v21, 1
	v_add_f16_e32 v17, v17, v32
	v_mul_u32_u24_sdwa v20, v29, v20 dst_sel:DWORD dst_unused:UNUSED_PAD src0_sel:WORD_0 src1_sel:DWORD
	v_lshlrev_b32_sdwa v21, v21, v30 dst_sel:DWORD dst_unused:UNUSED_PAD src0_sel:DWORD src1_sel:BYTE_0
	v_add_f16_e32 v17, v17, v24
	v_add3_u32 v20, 0, v20, v21
	ds_write_b16 v20, v17
	ds_write_b16 v20, v16 offset:6
	ds_write_b16 v20, v14 offset:12
.LBB0_27:
	s_or_b32 exec_lo, exec_lo, s1
	v_mul_lo_u16 v17, v19, 57
	s_waitcnt lgkmcnt(0)
	s_barrier
	buffer_gl0_inv
	v_mov_b32_e32 v32, 0x5a
	v_lshrrev_b16 v19, 9, v17
	v_mul_lo_u16 v17, v4, 57
	v_mov_b32_e32 v33, 1
	v_cmp_gt_u32_e64 s0, 27, v3
	v_mul_lo_u16 v20, v19, 9
	v_lshrrev_b16 v21, 9, v17
	v_mov_b32_e32 v17, 4
	v_mul_u32_u24_sdwa v19, v19, v32 dst_sel:DWORD dst_unused:UNUSED_PAD src0_sel:WORD_0 src1_sel:DWORD
	v_sub_nc_u16 v20, v3, v20
	v_mul_lo_u16 v22, v21, 9
	v_mul_u32_u24_sdwa v21, v21, v32 dst_sel:DWORD dst_unused:UNUSED_PAD src0_sel:WORD_0 src1_sel:DWORD
	v_lshlrev_b32_sdwa v24, v17, v20 dst_sel:DWORD dst_unused:UNUSED_PAD src0_sel:DWORD src1_sel:BYTE_0
	v_sub_nc_u16 v22, v7, v22
	v_lshlrev_b32_sdwa v20, v33, v20 dst_sel:DWORD dst_unused:UNUSED_PAD src0_sel:DWORD src1_sel:BYTE_0
	global_load_dwordx4 v[48:51], v24, s[12:13] offset:24
	v_lshlrev_b32_sdwa v17, v17, v22 dst_sel:DWORD dst_unused:UNUSED_PAD src0_sel:DWORD src1_sel:BYTE_0
	v_lshlrev_b32_sdwa v22, v33, v22 dst_sel:DWORD dst_unused:UNUSED_PAD src0_sel:DWORD src1_sel:BYTE_0
	v_add3_u32 v33, 0, v19, v20
	global_load_dwordx4 v[52:55], v17, s[12:13] offset:24
	ds_read_u16 v29, v13 offset:504
	ds_read_u16 v30, v12
	ds_read_u16 v37, v0 offset:756
	ds_read_u16 v38, v0 offset:1008
	ds_read_u16 v17, v11
	ds_read_u16 v24, v0
	ds_read_u16 v56, v0 offset:378
	ds_read_u16 v57, v0 offset:1134
	;; [unrolled: 1-line block ×4, first 2 shown]
	v_add3_u32 v32, 0, v21, v22
	s_waitcnt vmcnt(0) lgkmcnt(0)
	s_barrier
	buffer_gl0_inv
	v_mul_f16_sdwa v45, v29, v49 dst_sel:DWORD dst_unused:UNUSED_PAD src0_sel:DWORD src1_sel:WORD_1
	v_mul_f16_sdwa v46, v37, v50 dst_sel:DWORD dst_unused:UNUSED_PAD src0_sel:DWORD src1_sel:WORD_1
	v_mul_f16_sdwa v44, v30, v48 dst_sel:DWORD dst_unused:UNUSED_PAD src0_sel:DWORD src1_sel:WORD_1
	v_mul_f16_sdwa v47, v38, v51 dst_sel:DWORD dst_unused:UNUSED_PAD src0_sel:DWORD src1_sel:WORD_1
	v_mul_f16_sdwa v20, v26, v48 dst_sel:DWORD dst_unused:UNUSED_PAD src0_sel:DWORD src1_sel:WORD_1
	v_mul_f16_sdwa v43, v34, v51 dst_sel:DWORD dst_unused:UNUSED_PAD src0_sel:DWORD src1_sel:WORD_1
	v_mul_f16_sdwa v39, v56, v52 dst_sel:DWORD dst_unused:UNUSED_PAD src0_sel:DWORD src1_sel:WORD_1
	v_mul_f16_sdwa v19, v59, v53 dst_sel:DWORD dst_unused:UNUSED_PAD src0_sel:DWORD src1_sel:WORD_1
	v_mul_f16_sdwa v36, v58, v54 dst_sel:DWORD dst_unused:UNUSED_PAD src0_sel:DWORD src1_sel:WORD_1
	v_mul_f16_sdwa v40, v57, v55 dst_sel:DWORD dst_unused:UNUSED_PAD src0_sel:DWORD src1_sel:WORD_1
	v_fmac_f16_e32 v45, v31, v49
	v_fmac_f16_e32 v46, v35, v50
	v_mul_f16_sdwa v21, v31, v49 dst_sel:DWORD dst_unused:UNUSED_PAD src0_sel:DWORD src1_sel:WORD_1
	v_mul_f16_sdwa v22, v35, v50 dst_sel:DWORD dst_unused:UNUSED_PAD src0_sel:DWORD src1_sel:WORD_1
	v_fmac_f16_e32 v44, v26, v48
	v_fmac_f16_e32 v47, v34, v51
	v_mul_f16_sdwa v60, v25, v52 dst_sel:DWORD dst_unused:UNUSED_PAD src0_sel:DWORD src1_sel:WORD_1
	v_mul_f16_sdwa v61, v28, v53 dst_sel:DWORD dst_unused:UNUSED_PAD src0_sel:DWORD src1_sel:WORD_1
	;; [unrolled: 1-line block ×4, first 2 shown]
	v_fmac_f16_e32 v39, v25, v52
	v_fmac_f16_e32 v19, v28, v53
	;; [unrolled: 1-line block ×4, first 2 shown]
	v_fma_f16 v41, v30, v48, -v20
	v_fma_f16 v43, v38, v51, -v43
	v_add_f16_e32 v20, v45, v46
	v_fma_f16 v31, v29, v49, -v21
	v_fma_f16 v42, v37, v50, -v22
	v_add_f16_e32 v27, v44, v47
	v_fma_f16 v35, v56, v52, -v60
	v_fma_f16 v37, v59, v53, -v61
	v_fma_f16 v38, v58, v54, -v62
	v_fma_f16 v34, v57, v55, -v63
	v_add_f16_e32 v18, v23, v44
	v_add_f16_e32 v48, v19, v36
	;; [unrolled: 1-line block ×3, first 2 shown]
	v_sub_f16_e32 v21, v41, v43
	v_fma_f16 v56, -0.5, v20, v23
	v_sub_f16_e32 v22, v31, v42
	v_sub_f16_e32 v25, v44, v45
	;; [unrolled: 1-line block ×7, first 2 shown]
	v_fmac_f16_e32 v23, -0.5, v27
	v_add_f16_e32 v30, v15, v39
	v_sub_f16_e32 v49, v35, v34
	v_sub_f16_e32 v50, v37, v38
	v_add_f16_e32 v18, v18, v45
	v_fma_f16 v20, -0.5, v48, v15
	v_fmac_f16_e32 v15, -0.5, v53
	v_fmamk_f16 v48, v21, 0xbb9c, v56
	v_add_f16_e32 v25, v25, v26
	v_add_f16_e32 v26, v28, v29
	;; [unrolled: 1-line block ×3, first 2 shown]
	v_fmamk_f16 v51, v22, 0x3b9c, v23
	v_fmac_f16_e32 v23, 0xbb9c, v22
	v_fmac_f16_e32 v56, 0x3b9c, v21
	v_sub_f16_e32 v54, v19, v39
	v_sub_f16_e32 v55, v36, v40
	v_add_f16_e32 v27, v30, v19
	v_add_f16_e32 v30, v18, v46
	v_fmamk_f16 v52, v49, 0xbb9c, v20
	v_fmac_f16_e32 v20, 0x3b9c, v49
	v_fmamk_f16 v18, v50, 0x3b9c, v15
	v_fmac_f16_e32 v15, 0xbb9c, v50
	v_fmac_f16_e32 v48, 0xb8b4, v22
	;; [unrolled: 1-line block ×5, first 2 shown]
	v_add_f16_e32 v29, v54, v55
	v_add_f16_e32 v27, v27, v36
	;; [unrolled: 1-line block ×3, first 2 shown]
	v_fmac_f16_e32 v52, 0xb8b4, v50
	v_fmac_f16_e32 v20, 0x38b4, v50
	;; [unrolled: 1-line block ×8, first 2 shown]
	v_add_f16_e32 v21, v27, v40
	v_fmac_f16_e32 v52, 0x34f2, v28
	v_fmac_f16_e32 v20, 0x34f2, v28
	;; [unrolled: 1-line block ×4, first 2 shown]
	ds_write_b16 v33, v30
	ds_write_b16 v33, v48 offset:18
	ds_write_b16 v33, v51 offset:36
	;; [unrolled: 1-line block ×4, first 2 shown]
	ds_write_b16 v32, v21
	ds_write_b16 v32, v52 offset:18
	ds_write_b16 v32, v18 offset:36
	;; [unrolled: 1-line block ×4, first 2 shown]
	s_waitcnt lgkmcnt(0)
	s_barrier
	buffer_gl0_inv
	ds_read_u16 v23, v0
	ds_read_u16 v30, v0 offset:180
	ds_read_u16 v29, v0 offset:360
	;; [unrolled: 1-line block ×6, first 2 shown]
                                        ; implicit-def: $vgpr21
                                        ; implicit-def: $vgpr22
	s_and_saveexec_b32 s1, s0
	s_cbranch_execz .LBB0_29
; %bb.28:
	ds_read_u16 v15, v0 offset:306
	ds_read_u16 v20, v0 offset:486
	;; [unrolled: 1-line block ×5, first 2 shown]
	ds_read_u16 v18, v11
	ds_read_u16 v21, v0 offset:1206
.LBB0_29:
	s_or_b32 exec_lo, exec_lo, s1
	v_add_f16_e32 v48, v31, v42
	v_add_f16_e32 v49, v24, v41
	v_sub_f16_e32 v44, v44, v47
	v_sub_f16_e32 v45, v45, v46
	;; [unrolled: 1-line block ×3, first 2 shown]
	v_fma_f16 v46, -0.5, v48, v24
	v_sub_f16_e32 v48, v43, v42
	v_add_f16_e32 v49, v49, v31
	v_add_f16_e32 v50, v41, v43
	v_sub_f16_e32 v41, v31, v41
	v_sub_f16_e32 v39, v39, v40
	v_add_f16_e32 v47, v47, v48
	v_add_f16_e32 v48, v49, v42
	v_fmac_f16_e32 v24, -0.5, v50
	v_sub_f16_e32 v42, v42, v43
	v_add_f16_e32 v49, v37, v38
	v_sub_f16_e32 v36, v19, v36
	v_add_f16_e32 v48, v48, v43
	v_add_f16_e32 v43, v17, v35
	v_fmamk_f16 v50, v45, 0xbb9c, v24
	v_fmac_f16_e32 v24, 0x3b9c, v45
	v_add_f16_e32 v40, v41, v42
	v_fma_f16 v31, -0.5, v49, v17
	v_add_f16_e32 v41, v43, v37
	v_add_f16_e32 v43, v35, v34
	v_fmac_f16_e32 v50, 0x38b4, v44
	v_fmac_f16_e32 v24, 0xb8b4, v44
	v_fmamk_f16 v51, v44, 0x3b9c, v46
	v_fmac_f16_e32 v46, 0xbb9c, v44
	v_fmac_f16_e32 v17, -0.5, v43
	v_fmamk_f16 v42, v39, 0x3b9c, v31
	v_fmac_f16_e32 v50, 0x34f2, v40
	v_fmac_f16_e32 v24, 0x34f2, v40
	v_add_f16_e32 v40, v41, v38
	v_sub_f16_e32 v41, v35, v37
	v_sub_f16_e32 v43, v34, v38
	v_fmac_f16_e32 v31, 0xbb9c, v39
	v_fmamk_f16 v19, v36, 0xbb9c, v17
	v_sub_f16_e32 v35, v37, v35
	v_sub_f16_e32 v37, v38, v34
	v_fmac_f16_e32 v17, 0x3b9c, v36
	v_fmac_f16_e32 v51, 0x38b4, v45
	;; [unrolled: 1-line block ×4, first 2 shown]
	v_add_f16_e32 v38, v41, v43
	v_fmac_f16_e32 v31, 0xb8b4, v36
	v_fmac_f16_e32 v19, 0x38b4, v39
	v_add_f16_e32 v35, v35, v37
	v_fmac_f16_e32 v17, 0xb8b4, v39
	v_fmac_f16_e32 v51, 0x34f2, v47
	;; [unrolled: 1-line block ×3, first 2 shown]
	v_add_f16_e32 v34, v40, v34
	v_fmac_f16_e32 v42, 0x34f2, v38
	v_fmac_f16_e32 v31, 0x34f2, v38
	;; [unrolled: 1-line block ×4, first 2 shown]
	s_waitcnt lgkmcnt(0)
	s_barrier
	buffer_gl0_inv
	ds_write_b16 v33, v48
	ds_write_b16 v33, v51 offset:18
	ds_write_b16 v33, v50 offset:36
	;; [unrolled: 1-line block ×4, first 2 shown]
	ds_write_b16 v32, v34
	ds_write_b16 v32, v42 offset:18
	ds_write_b16 v32, v19 offset:36
	;; [unrolled: 1-line block ×4, first 2 shown]
	s_waitcnt lgkmcnt(0)
	s_barrier
	buffer_gl0_inv
	ds_read_u16 v24, v0
	ds_read_u16 v40, v0 offset:180
	ds_read_u16 v39, v0 offset:360
	;; [unrolled: 1-line block ×6, first 2 shown]
                                        ; implicit-def: $vgpr33
                                        ; implicit-def: $vgpr34
	s_and_saveexec_b32 s1, s0
	s_cbranch_execz .LBB0_31
; %bb.30:
	ds_read_u16 v17, v0 offset:306
	ds_read_u16 v31, v0 offset:486
	;; [unrolled: 1-line block ×5, first 2 shown]
	ds_read_u16 v19, v11
	ds_read_u16 v33, v0 offset:1206
.LBB0_31:
	s_or_b32 exec_lo, exec_lo, s1
	v_subrev_nc_u32_e32 v32, 45, v3
	v_cmp_gt_u32_e64 s1, 45, v3
	v_mov_b32_e32 v42, 0
	v_mul_lo_u16 v4, 0x6d, v4
	v_cndmask_b32_e64 v32, v32, v3, s1
	v_lshrrev_b16 v4, 8, v4
	v_mul_i32_i24_e32 v41, 6, v32
	v_lshlrev_b32_e32 v32, 1, v32
	v_sub_nc_u16 v43, v7, v4
	v_lshlrev_b64 v[41:42], 2, v[41:42]
	v_add_co_u32 v41, s1, s12, v41
	v_add_co_ci_u32_e64 v42, s1, s13, v42, s1
	v_cmp_lt_u32_e64 s1, 44, v3
	s_clause 0x1
	global_load_dwordx4 v[47:50], v[41:42], off offset:168
	global_load_dwordx2 v[55:56], v[41:42], off offset:184
	v_lshrrev_b16 v41, 1, v43
	v_and_b32_e32 v41, 0x7f, v41
	v_add_nc_u16 v4, v41, v4
	v_lshrrev_b16 v4, 5, v4
	v_mul_lo_u16 v4, v4, 45
	v_sub_nc_u16 v4, v7, v4
	v_and_b32_e32 v4, 0xff, v4
	v_mul_u32_u24_e32 v41, 6, v4
	v_lshl_add_u32 v4, v4, 1, 0
	v_lshlrev_b32_e32 v41, 2, v41
	s_clause 0x1
	global_load_dwordx4 v[51:54], v41, s[12:13] offset:168
	global_load_dwordx2 v[57:58], v41, s[12:13] offset:184
	v_cndmask_b32_e64 v41, 0, 0x276, s1
	s_waitcnt vmcnt(0) lgkmcnt(0)
	s_barrier
	buffer_gl0_inv
	v_add3_u32 v32, 0, v41, v32
	v_mul_f16_sdwa v42, v40, v47 dst_sel:DWORD dst_unused:UNUSED_PAD src0_sel:DWORD src1_sel:WORD_1
	v_mul_f16_sdwa v41, v39, v48 dst_sel:DWORD dst_unused:UNUSED_PAD src0_sel:DWORD src1_sel:WORD_1
	;; [unrolled: 1-line block ×12, first 2 shown]
	v_fmac_f16_e32 v42, v30, v47
	v_fmac_f16_e32 v41, v29, v48
	;; [unrolled: 1-line block ×4, first 2 shown]
	v_fma_f16 v40, v40, v47, -v59
	v_fma_f16 v39, v39, v48, -v60
	v_fmac_f16_e32 v43, v27, v49
	v_fma_f16 v38, v38, v49, -v61
	v_fmac_f16_e32 v44, v26, v50
	v_fma_f16 v47, v37, v56, -v64
	v_fma_f16 v37, v35, v50, -v62
	;; [unrolled: 1-line block ×3, first 2 shown]
	v_add_f16_e32 v25, v42, v46
	v_add_f16_e32 v26, v41, v45
	v_sub_f16_e32 v27, v40, v47
	v_add_f16_e32 v28, v43, v44
	v_sub_f16_e32 v29, v39, v36
	v_sub_f16_e32 v30, v37, v38
	v_add_f16_e32 v35, v26, v25
	v_sub_f16_e32 v48, v26, v25
	v_sub_f16_e32 v25, v25, v28
	;; [unrolled: 1-line block ×3, first 2 shown]
	v_add_f16_e32 v49, v30, v29
	v_sub_f16_e32 v50, v30, v29
	v_sub_f16_e32 v29, v29, v27
	v_add_f16_e32 v28, v28, v35
	v_sub_f16_e32 v30, v27, v30
	v_add_f16_e32 v27, v49, v27
	v_mul_f16_e32 v25, 0x3a52, v25
	v_mul_f16_e32 v49, 0x3846, v50
	;; [unrolled: 1-line block ×3, first 2 shown]
	v_add_f16_e32 v23, v23, v28
	v_mul_f16_e32 v35, 0x2b26, v26
	v_fmamk_f16 v55, v26, 0x2b26, v25
	v_fmamk_f16 v56, v30, 0xb574, v49
	v_fma_f16 v49, v29, 0xbb00, -v49
	v_fma_f16 v50, v30, 0x3574, -v50
	v_fmamk_f16 v59, v28, 0xbcab, v23
	v_fma_f16 v35, v48, 0x39e0, -v35
	v_fma_f16 v48, v48, 0xb9e0, -v25
	v_fmac_f16_e32 v56, 0xb70e, v27
	v_fmac_f16_e32 v49, 0xb70e, v27
	;; [unrolled: 1-line block ×3, first 2 shown]
	ds_write_b16 v32, v23
	v_mul_f16_sdwa v26, v17, v51 dst_sel:DWORD dst_unused:UNUSED_PAD src0_sel:DWORD src1_sel:WORD_1
	v_mul_f16_sdwa v23, v15, v51 dst_sel:DWORD dst_unused:UNUSED_PAD src0_sel:DWORD src1_sel:WORD_1
	v_mul_f16_sdwa v25, v31, v52 dst_sel:DWORD dst_unused:UNUSED_PAD src0_sel:DWORD src1_sel:WORD_1
	v_mul_f16_sdwa v60, v20, v52 dst_sel:DWORD dst_unused:UNUSED_PAD src0_sel:DWORD src1_sel:WORD_1
	v_mul_f16_sdwa v27, v16, v53 dst_sel:DWORD dst_unused:UNUSED_PAD src0_sel:DWORD src1_sel:WORD_1
	v_mul_f16_sdwa v61, v10, v53 dst_sel:DWORD dst_unused:UNUSED_PAD src0_sel:DWORD src1_sel:WORD_1
	v_mul_f16_sdwa v28, v14, v54 dst_sel:DWORD dst_unused:UNUSED_PAD src0_sel:DWORD src1_sel:WORD_1
	v_mul_f16_sdwa v62, v8, v54 dst_sel:DWORD dst_unused:UNUSED_PAD src0_sel:DWORD src1_sel:WORD_1
	v_mul_f16_sdwa v29, v34, v57 dst_sel:DWORD dst_unused:UNUSED_PAD src0_sel:DWORD src1_sel:WORD_1
	v_mul_f16_sdwa v63, v22, v57 dst_sel:DWORD dst_unused:UNUSED_PAD src0_sel:DWORD src1_sel:WORD_1
	v_mul_f16_sdwa v30, v33, v58 dst_sel:DWORD dst_unused:UNUSED_PAD src0_sel:DWORD src1_sel:WORD_1
	v_mul_f16_sdwa v64, v21, v58 dst_sel:DWORD dst_unused:UNUSED_PAD src0_sel:DWORD src1_sel:WORD_1
	v_add_f16_e32 v55, v55, v59
	v_add_f16_e32 v48, v48, v59
	;; [unrolled: 1-line block ×3, first 2 shown]
	v_fmac_f16_e32 v26, v15, v51
	v_fma_f16 v35, v17, v51, -v23
	v_fmac_f16_e32 v25, v20, v52
	v_fma_f16 v31, v31, v52, -v60
	;; [unrolled: 2-line block ×6, first 2 shown]
	v_add_f16_e32 v14, v56, v55
	v_add_f16_e32 v15, v50, v48
	v_sub_f16_e32 v16, v65, v49
	v_add_f16_e32 v17, v49, v65
	v_sub_f16_e32 v20, v48, v50
	v_sub_f16_e32 v21, v55, v56
	ds_write_b16 v32, v14 offset:90
	ds_write_b16 v32, v15 offset:180
	;; [unrolled: 1-line block ×6, first 2 shown]
	s_and_saveexec_b32 s1, s0
	s_cbranch_execz .LBB0_33
; %bb.32:
	v_add_f16_e32 v14, v26, v30
	v_add_f16_e32 v15, v25, v29
	;; [unrolled: 1-line block ×3, first 2 shown]
	v_sub_f16_e32 v20, v8, v10
	v_sub_f16_e32 v22, v31, v34
	;; [unrolled: 1-line block ×3, first 2 shown]
	v_add_f16_e32 v21, v15, v14
	v_sub_f16_e32 v23, v14, v16
	v_sub_f16_e32 v48, v16, v15
	;; [unrolled: 1-line block ×4, first 2 shown]
	v_add_f16_e32 v16, v16, v21
	v_sub_f16_e32 v21, v20, v22
	v_add_f16_e32 v20, v20, v22
	v_sub_f16_e32 v22, v22, v17
	v_mul_f16_e32 v15, 0x3a52, v23
	v_add_f16_e32 v18, v18, v16
	v_mul_f16_e32 v21, 0x3846, v21
	v_add_f16_e32 v17, v20, v17
	v_mul_f16_e32 v23, 0xbb00, v22
	v_fmamk_f16 v20, v48, 0x2b26, v15
	v_mul_f16_e32 v48, 0x2b26, v48
	v_fmamk_f16 v16, v16, 0xbcab, v18
	v_fmamk_f16 v50, v49, 0xb574, v21
	v_fma_f16 v15, v14, 0xb9e0, -v15
	v_fma_f16 v23, v49, 0x3574, -v23
	;; [unrolled: 1-line block ×4, first 2 shown]
	v_add_f16_e32 v20, v20, v16
	v_fmac_f16_e32 v50, 0xb70e, v17
	v_add_f16_e32 v15, v15, v16
	v_fmac_f16_e32 v23, 0xb70e, v17
	v_fmac_f16_e32 v21, 0xb70e, v17
	v_add_f16_e32 v14, v14, v16
	v_sub_f16_e32 v16, v20, v50
	v_add_f16_e32 v20, v50, v20
	v_sub_f16_e32 v17, v15, v23
	;; [unrolled: 2-line block ×3, first 2 shown]
	v_add_f16_e32 v14, v21, v14
	ds_write_b16 v4, v18 offset:630
	ds_write_b16 v4, v20 offset:720
	;; [unrolled: 1-line block ×7, first 2 shown]
.LBB0_33:
	s_or_b32 exec_lo, exec_lo, s1
	v_add_f16_e32 v14, v40, v47
	v_add_f16_e32 v15, v39, v36
	;; [unrolled: 1-line block ×3, first 2 shown]
	v_sub_f16_e32 v18, v41, v45
	v_sub_f16_e32 v20, v44, v43
	;; [unrolled: 1-line block ×3, first 2 shown]
	v_add_f16_e32 v21, v15, v14
	v_sub_f16_e32 v22, v15, v14
	v_sub_f16_e32 v14, v14, v17
	;; [unrolled: 1-line block ×3, first 2 shown]
	v_add_f16_e32 v23, v20, v18
	v_add_f16_e32 v17, v17, v21
	v_sub_f16_e32 v21, v20, v18
	v_sub_f16_e32 v20, v16, v20
	v_sub_f16_e32 v18, v18, v16
	v_add_f16_e32 v36, v23, v16
	v_add_f16_e32 v37, v24, v17
	v_mul_f16_e32 v14, 0x3a52, v14
	v_mul_f16_e32 v16, 0x2b26, v15
	;; [unrolled: 1-line block ×4, first 2 shown]
	v_fmamk_f16 v17, v17, 0xbcab, v37
	v_fmamk_f16 v15, v15, 0x2b26, v14
	v_fma_f16 v16, v22, 0x39e0, -v16
	v_fma_f16 v14, v22, 0xb9e0, -v14
	v_fmamk_f16 v38, v20, 0xb574, v21
	v_fma_f16 v39, v18, 0xbb00, -v21
	v_fma_f16 v40, v20, 0x3574, -v23
	v_add_f16_e32 v41, v15, v17
	v_add_f16_e32 v42, v16, v17
	;; [unrolled: 1-line block ×3, first 2 shown]
	s_waitcnt lgkmcnt(0)
	s_barrier
	buffer_gl0_inv
	ds_read_u16 v14, v11
	ds_read_u16 v16, v12
	ds_read_u16 v15, v0
	ds_read_u16 v20, v0 offset:630
	ds_read_u16 v21, v0 offset:756
	;; [unrolled: 1-line block ×7, first 2 shown]
	v_fmac_f16_e32 v38, 0xb70e, v36
	v_fmac_f16_e32 v40, 0xb70e, v36
	;; [unrolled: 1-line block ×3, first 2 shown]
	s_waitcnt lgkmcnt(0)
	s_barrier
	v_sub_f16_e32 v36, v41, v38
	v_sub_f16_e32 v44, v43, v40
	v_add_f16_e32 v45, v39, v42
	v_sub_f16_e32 v39, v42, v39
	v_add_f16_e32 v40, v40, v43
	v_add_f16_e32 v38, v38, v41
	buffer_gl0_inv
	ds_write_b16 v32, v37
	ds_write_b16 v32, v36 offset:90
	ds_write_b16 v32, v44 offset:180
	;; [unrolled: 1-line block ×6, first 2 shown]
	s_and_saveexec_b32 s1, s0
	s_cbranch_execz .LBB0_35
; %bb.34:
	v_add_f16_e32 v32, v35, v33
	v_add_f16_e32 v31, v31, v34
	;; [unrolled: 1-line block ×3, first 2 shown]
	v_sub_f16_e32 v10, v25, v29
	v_sub_f16_e32 v25, v28, v27
	;; [unrolled: 1-line block ×3, first 2 shown]
	v_add_f16_e32 v27, v31, v32
	v_sub_f16_e32 v28, v31, v32
	v_sub_f16_e32 v29, v32, v8
	;; [unrolled: 1-line block ×3, first 2 shown]
	v_add_f16_e32 v31, v25, v10
	v_add_f16_e32 v8, v8, v27
	v_sub_f16_e32 v27, v25, v10
	v_sub_f16_e32 v10, v10, v26
	;; [unrolled: 1-line block ×3, first 2 shown]
	v_add_f16_e32 v26, v31, v26
	v_add_f16_e32 v19, v19, v8
	v_mul_f16_e32 v29, 0x3a52, v29
	v_mul_f16_e32 v31, 0x2b26, v30
	;; [unrolled: 1-line block ×4, first 2 shown]
	v_fmamk_f16 v8, v8, 0xbcab, v19
	v_fmamk_f16 v30, v30, 0x2b26, v29
	v_fma_f16 v31, v28, 0x39e0, -v31
	v_fma_f16 v28, v28, 0xb9e0, -v29
	v_fmamk_f16 v29, v25, 0xb574, v27
	v_fma_f16 v25, v25, 0x3574, -v32
	v_fma_f16 v10, v10, 0xbb00, -v27
	v_add_f16_e32 v27, v30, v8
	v_add_f16_e32 v30, v31, v8
	v_fmac_f16_e32 v29, 0xb70e, v26
	v_add_f16_e32 v8, v28, v8
	v_fmac_f16_e32 v25, 0xb70e, v26
	v_fmac_f16_e32 v10, 0xb70e, v26
	v_sub_f16_e32 v26, v27, v29
	v_sub_f16_e32 v28, v8, v25
	v_add_f16_e32 v31, v10, v30
	v_sub_f16_e32 v10, v30, v10
	v_add_f16_e32 v8, v25, v8
	v_add_f16_e32 v25, v29, v27
	ds_write_b16 v4, v19 offset:630
	ds_write_b16 v4, v26 offset:720
	;; [unrolled: 1-line block ×7, first 2 shown]
.LBB0_35:
	s_or_b32 exec_lo, exec_lo, s1
	s_waitcnt lgkmcnt(0)
	s_barrier
	buffer_gl0_inv
	s_and_saveexec_b32 s0, vcc_lo
	s_cbranch_execz .LBB0_37
; %bb.36:
	v_mov_b32_e32 v4, 0
	v_mul_lo_u32 v6, s4, v6
	v_lshlrev_b64 v[25:26], 2, v[3:4]
	v_mov_b32_e32 v10, v4
	v_mov_b32_e32 v8, v4
	v_lshlrev_b64 v[9:10], 2, v[9:10]
	v_add_co_u32 v25, vcc_lo, s12, v25
	v_add_co_ci_u32_e32 v26, vcc_lo, s13, v26, vcc_lo
	v_lshlrev_b64 v[7:8], 2, v[7:8]
	v_add_co_u32 v27, vcc_lo, 0x800, v25
	v_add_co_ci_u32_e32 v28, vcc_lo, 0, v26, vcc_lo
	v_add_co_u32 v9, vcc_lo, s12, v9
	v_add_co_ci_u32_e32 v10, vcc_lo, s13, v10, vcc_lo
	;; [unrolled: 2-line block ×3, first 2 shown]
	s_clause 0x4
	global_load_dword v19, v[27:28], off offset:208
	global_load_dword v40, v[9:10], off offset:1248
	;; [unrolled: 1-line block ×5, first 2 shown]
	v_mul_lo_u32 v7, s5, v5
	v_mad_u64_u32 v[4:5], null, s4, v5, 0
	v_mul_hi_u32 v8, 0xa01a01a1, v3
	v_add_nc_u32_e32 v9, 63, v3
	v_add_nc_u32_e32 v10, 0x7e, v3
	ds_read_u16 v44, v13 offset:504
	ds_read_u16 v45, v13 offset:378
	v_add_nc_u32_e32 v13, 0xbd, v3
	v_add_nc_u32_e32 v25, 0xfc, v3
	ds_read_u16 v46, v12
	ds_read_u16 v47, v11
	v_mul_hi_u32 v11, 0xa01a01a1, v9
	v_mul_hi_u32 v12, 0xa01a01a1, v10
	v_add3_u32 v5, v5, v6, v7
	v_sub_nc_u32_e32 v6, v3, v8
	v_mul_hi_u32 v26, 0xa01a01a1, v13
	v_mul_hi_u32 v27, 0xa01a01a1, v25
	ds_read_u16 v48, v0 offset:1134
	ds_read_u16 v49, v0 offset:1008
	;; [unrolled: 1-line block ×5, first 2 shown]
	ds_read_u16 v53, v0
	v_lshlrev_b64 v[0:1], 2, v[1:2]
	v_lshrrev_b32_e32 v2, 1, v6
	v_sub_nc_u32_e32 v6, v9, v11
	v_sub_nc_u32_e32 v7, v10, v12
	v_lshlrev_b64 v[4:5], 2, v[4:5]
	v_sub_nc_u32_e32 v28, v13, v26
	v_sub_nc_u32_e32 v29, v25, v27
	v_lshrrev_b32_e32 v6, 1, v6
	v_add_nc_u32_e32 v2, v2, v8
	v_lshrrev_b32_e32 v7, 1, v7
	v_lshrrev_b32_e32 v8, 1, v28
	;; [unrolled: 1-line block ×3, first 2 shown]
	v_add_co_u32 v4, vcc_lo, s10, v4
	v_add_nc_u32_e32 v6, v6, v11
	v_lshrrev_b32_e32 v2, 8, v2
	v_add_co_ci_u32_e32 v5, vcc_lo, s11, v5, vcc_lo
	v_add_nc_u32_e32 v7, v7, v12
	v_add_nc_u32_e32 v8, v8, v26
	;; [unrolled: 1-line block ×3, first 2 shown]
	v_add_co_u32 v54, vcc_lo, v4, v0
	v_lshrrev_b32_e32 v4, 8, v6
	v_mul_u32_u24_e32 v0, 0x13b, v2
	v_add_co_ci_u32_e32 v55, vcc_lo, v5, v1, vcc_lo
	v_lshrrev_b32_e32 v5, 8, v7
	v_lshrrev_b32_e32 v6, 8, v8
	;; [unrolled: 1-line block ×3, first 2 shown]
	v_mul_u32_u24_e32 v2, 0x13b, v4
	v_sub_nc_u32_e32 v12, v3, v0
	v_mul_u32_u24_e32 v3, 0x13b, v5
	v_mul_u32_u24_e32 v8, 0x13b, v6
	;; [unrolled: 1-line block ×3, first 2 shown]
	v_sub_nc_u32_e32 v9, v9, v2
	v_add_nc_u32_e32 v33, 0x13b, v12
	v_sub_nc_u32_e32 v10, v10, v3
	v_sub_nc_u32_e32 v8, v13, v8
	;; [unrolled: 1-line block ×3, first 2 shown]
	v_mad_u32_u24 v35, 0x276, v4, v9
	v_mad_u64_u32 v[0:1], null, s2, v12, 0
	v_mad_u64_u32 v[2:3], null, s2, v33, 0
	v_mad_u32_u24 v36, 0x276, v5, v10
	v_mad_u32_u24 v37, 0x276, v6, v8
	;; [unrolled: 1-line block ×3, first 2 shown]
	v_mad_u64_u32 v[4:5], null, s2, v35, 0
	v_mad_u64_u32 v[6:7], null, s2, v36, 0
	v_add_nc_u32_e32 v56, 0x13b, v36
	v_mad_u64_u32 v[8:9], null, s2, v37, 0
	v_mad_u64_u32 v[10:11], null, s2, v38, 0
	;; [unrolled: 1-line block ×3, first 2 shown]
	v_mov_b32_e32 v1, v3
	v_add_nc_u32_e32 v57, 0x13b, v37
	v_add_nc_u32_e32 v39, 0x13b, v35
	v_add_nc_u32_e32 v58, 0x13b, v38
	v_mad_u64_u32 v[27:28], null, s2, v56, 0
	v_mov_b32_e32 v3, v5
	v_mad_u64_u32 v[33:34], null, s3, v33, v[1:2]
	v_mad_u64_u32 v[29:30], null, s2, v57, 0
	v_mov_b32_e32 v5, v7
	v_mad_u64_u32 v[25:26], null, s2, v39, 0
	v_mad_u64_u32 v[31:32], null, s2, v58, 0
	v_mov_b32_e32 v7, v9
	v_mov_b32_e32 v9, v11
	;; [unrolled: 1-line block ×3, first 2 shown]
	v_mad_u64_u32 v[11:12], null, s3, v35, v[3:4]
	v_mad_u64_u32 v[34:35], null, s3, v36, v[5:6]
	v_mov_b32_e32 v5, v28
	v_mov_b32_e32 v3, v33
	v_mad_u64_u32 v[35:36], null, s3, v37, v[7:8]
	v_mov_b32_e32 v7, v30
	v_mov_b32_e32 v12, v26
	v_lshlrev_b64 v[0:1], 2, v[0:1]
	v_mad_u64_u32 v[36:37], null, s3, v38, v[9:10]
	v_mov_b32_e32 v9, v32
	v_mad_u64_u32 v[32:33], null, s3, v56, v[5:6]
	v_mov_b32_e32 v5, v11
	v_lshlrev_b64 v[2:3], 2, v[2:3]
	v_mad_u64_u32 v[37:38], null, s3, v57, v[7:8]
	v_mov_b32_e32 v7, v34
	v_mad_u64_u32 v[12:13], null, s3, v39, v[12:13]
	v_add_co_u32 v0, vcc_lo, v54, v0
	v_lshlrev_b64 v[4:5], 2, v[4:5]
	v_mad_u64_u32 v[38:39], null, s3, v58, v[9:10]
	v_mov_b32_e32 v9, v35
	v_add_co_ci_u32_e32 v1, vcc_lo, v55, v1, vcc_lo
	v_lshlrev_b64 v[6:7], 2, v[6:7]
	v_add_co_u32 v2, vcc_lo, v54, v2
	v_mov_b32_e32 v11, v36
	v_add_co_ci_u32_e32 v3, vcc_lo, v55, v3, vcc_lo
	v_lshlrev_b64 v[8:9], 2, v[8:9]
	v_add_co_u32 v4, vcc_lo, v54, v4
	;; [unrolled: 4-line block ×6, first 2 shown]
	v_add_co_ci_u32_e32 v13, vcc_lo, v55, v13, vcc_lo
	v_lshlrev_b64 v[29:30], 2, v[31:32]
	v_add_co_u32 v25, vcc_lo, v54, v25
	v_add_co_ci_u32_e32 v26, vcc_lo, v55, v26, vcc_lo
	v_add_co_u32 v27, vcc_lo, v54, v27
	v_add_co_ci_u32_e32 v28, vcc_lo, v55, v28, vcc_lo
	;; [unrolled: 2-line block ×3, first 2 shown]
	s_waitcnt vmcnt(4)
	v_lshrrev_b32_e32 v31, 16, v19
	s_waitcnt vmcnt(3)
	v_lshrrev_b32_e32 v35, 16, v40
	;; [unrolled: 2-line block ×5, first 2 shown]
	v_mul_f16_e32 v34, v23, v42
	v_mul_f16_e32 v54, v20, v43
	;; [unrolled: 1-line block ×9, first 2 shown]
	s_waitcnt lgkmcnt(4)
	v_fmac_f16_e32 v34, v49, v33
	v_mul_f16_e32 v23, v23, v33
	s_waitcnt lgkmcnt(1)
	v_fmac_f16_e32 v54, v52, v39
	v_fma_f16 v20, v52, v43, -v20
	v_fmac_f16_e32 v38, v51, v37
	v_fma_f16 v21, v51, v41, -v21
	v_fmac_f16_e32 v32, v48, v31
	v_fmac_f16_e32 v36, v50, v35
	v_fma_f16 v22, v50, v40, -v22
	v_fma_f16 v19, v48, v19, -v24
	v_sub_f16_e32 v24, v17, v34
	v_fma_f16 v23, v49, v42, -v23
	v_sub_f16_e32 v34, v15, v54
	s_waitcnt lgkmcnt(0)
	v_sub_f16_e32 v20, v53, v20
	v_sub_f16_e32 v33, v14, v38
	;; [unrolled: 1-line block ×8, first 2 shown]
	v_fma_f16 v15, v15, 2.0, -v34
	v_fma_f16 v39, v53, 2.0, -v20
	v_fma_f16 v14, v14, 2.0, -v33
	v_fma_f16 v38, v47, 2.0, -v21
	v_fma_f16 v16, v16, 2.0, -v32
	v_fma_f16 v37, v46, 2.0, -v22
	v_fma_f16 v18, v18, 2.0, -v31
	v_fma_f16 v17, v17, 2.0, -v24
	v_fma_f16 v35, v44, 2.0, -v19
	v_fma_f16 v36, v45, 2.0, -v23
	v_pack_b32_f16 v15, v15, v39
	v_pack_b32_f16 v20, v34, v20
	;; [unrolled: 1-line block ×10, first 2 shown]
	global_store_dword v[0:1], v15, off
	global_store_dword v[2:3], v20, off
	;; [unrolled: 1-line block ×10, first 2 shown]
.LBB0_37:
	s_endpgm
	.section	.rodata,"a",@progbits
	.p2align	6, 0x0
	.amdhsa_kernel fft_rtc_back_len630_factors_3_3_5_7_2_wgs_63_tpt_63_halfLds_half_op_CI_CI_sbrr_dirReg
		.amdhsa_group_segment_fixed_size 0
		.amdhsa_private_segment_fixed_size 0
		.amdhsa_kernarg_size 104
		.amdhsa_user_sgpr_count 6
		.amdhsa_user_sgpr_private_segment_buffer 1
		.amdhsa_user_sgpr_dispatch_ptr 0
		.amdhsa_user_sgpr_queue_ptr 0
		.amdhsa_user_sgpr_kernarg_segment_ptr 1
		.amdhsa_user_sgpr_dispatch_id 0
		.amdhsa_user_sgpr_flat_scratch_init 0
		.amdhsa_user_sgpr_private_segment_size 0
		.amdhsa_wavefront_size32 1
		.amdhsa_uses_dynamic_stack 0
		.amdhsa_system_sgpr_private_segment_wavefront_offset 0
		.amdhsa_system_sgpr_workgroup_id_x 1
		.amdhsa_system_sgpr_workgroup_id_y 0
		.amdhsa_system_sgpr_workgroup_id_z 0
		.amdhsa_system_sgpr_workgroup_info 0
		.amdhsa_system_vgpr_workitem_id 0
		.amdhsa_next_free_vgpr 66
		.amdhsa_next_free_sgpr 31
		.amdhsa_reserve_vcc 1
		.amdhsa_reserve_flat_scratch 0
		.amdhsa_float_round_mode_32 0
		.amdhsa_float_round_mode_16_64 0
		.amdhsa_float_denorm_mode_32 3
		.amdhsa_float_denorm_mode_16_64 3
		.amdhsa_dx10_clamp 1
		.amdhsa_ieee_mode 1
		.amdhsa_fp16_overflow 0
		.amdhsa_workgroup_processor_mode 1
		.amdhsa_memory_ordered 1
		.amdhsa_forward_progress 0
		.amdhsa_shared_vgpr_count 0
		.amdhsa_exception_fp_ieee_invalid_op 0
		.amdhsa_exception_fp_denorm_src 0
		.amdhsa_exception_fp_ieee_div_zero 0
		.amdhsa_exception_fp_ieee_overflow 0
		.amdhsa_exception_fp_ieee_underflow 0
		.amdhsa_exception_fp_ieee_inexact 0
		.amdhsa_exception_int_div_zero 0
	.end_amdhsa_kernel
	.text
.Lfunc_end0:
	.size	fft_rtc_back_len630_factors_3_3_5_7_2_wgs_63_tpt_63_halfLds_half_op_CI_CI_sbrr_dirReg, .Lfunc_end0-fft_rtc_back_len630_factors_3_3_5_7_2_wgs_63_tpt_63_halfLds_half_op_CI_CI_sbrr_dirReg
                                        ; -- End function
	.section	.AMDGPU.csdata,"",@progbits
; Kernel info:
; codeLenInByte = 9296
; NumSgprs: 33
; NumVgprs: 66
; ScratchSize: 0
; MemoryBound: 0
; FloatMode: 240
; IeeeMode: 1
; LDSByteSize: 0 bytes/workgroup (compile time only)
; SGPRBlocks: 4
; VGPRBlocks: 8
; NumSGPRsForWavesPerEU: 33
; NumVGPRsForWavesPerEU: 66
; Occupancy: 12
; WaveLimiterHint : 1
; COMPUTE_PGM_RSRC2:SCRATCH_EN: 0
; COMPUTE_PGM_RSRC2:USER_SGPR: 6
; COMPUTE_PGM_RSRC2:TRAP_HANDLER: 0
; COMPUTE_PGM_RSRC2:TGID_X_EN: 1
; COMPUTE_PGM_RSRC2:TGID_Y_EN: 0
; COMPUTE_PGM_RSRC2:TGID_Z_EN: 0
; COMPUTE_PGM_RSRC2:TIDIG_COMP_CNT: 0
	.text
	.p2alignl 6, 3214868480
	.fill 48, 4, 3214868480
	.type	__hip_cuid_478587d793ddfab7,@object ; @__hip_cuid_478587d793ddfab7
	.section	.bss,"aw",@nobits
	.globl	__hip_cuid_478587d793ddfab7
__hip_cuid_478587d793ddfab7:
	.byte	0                               ; 0x0
	.size	__hip_cuid_478587d793ddfab7, 1

	.ident	"AMD clang version 19.0.0git (https://github.com/RadeonOpenCompute/llvm-project roc-6.4.0 25133 c7fe45cf4b819c5991fe208aaa96edf142730f1d)"
	.section	".note.GNU-stack","",@progbits
	.addrsig
	.addrsig_sym __hip_cuid_478587d793ddfab7
	.amdgpu_metadata
---
amdhsa.kernels:
  - .args:
      - .actual_access:  read_only
        .address_space:  global
        .offset:         0
        .size:           8
        .value_kind:     global_buffer
      - .offset:         8
        .size:           8
        .value_kind:     by_value
      - .actual_access:  read_only
        .address_space:  global
        .offset:         16
        .size:           8
        .value_kind:     global_buffer
      - .actual_access:  read_only
        .address_space:  global
        .offset:         24
        .size:           8
        .value_kind:     global_buffer
      - .actual_access:  read_only
        .address_space:  global
        .offset:         32
        .size:           8
        .value_kind:     global_buffer
      - .offset:         40
        .size:           8
        .value_kind:     by_value
      - .actual_access:  read_only
        .address_space:  global
        .offset:         48
        .size:           8
        .value_kind:     global_buffer
      - .actual_access:  read_only
        .address_space:  global
        .offset:         56
        .size:           8
        .value_kind:     global_buffer
      - .offset:         64
        .size:           4
        .value_kind:     by_value
      - .actual_access:  read_only
        .address_space:  global
        .offset:         72
        .size:           8
        .value_kind:     global_buffer
      - .actual_access:  read_only
        .address_space:  global
        .offset:         80
        .size:           8
        .value_kind:     global_buffer
      - .actual_access:  read_only
        .address_space:  global
        .offset:         88
        .size:           8
        .value_kind:     global_buffer
      - .actual_access:  write_only
        .address_space:  global
        .offset:         96
        .size:           8
        .value_kind:     global_buffer
    .group_segment_fixed_size: 0
    .kernarg_segment_align: 8
    .kernarg_segment_size: 104
    .language:       OpenCL C
    .language_version:
      - 2
      - 0
    .max_flat_workgroup_size: 63
    .name:           fft_rtc_back_len630_factors_3_3_5_7_2_wgs_63_tpt_63_halfLds_half_op_CI_CI_sbrr_dirReg
    .private_segment_fixed_size: 0
    .sgpr_count:     33
    .sgpr_spill_count: 0
    .symbol:         fft_rtc_back_len630_factors_3_3_5_7_2_wgs_63_tpt_63_halfLds_half_op_CI_CI_sbrr_dirReg.kd
    .uniform_work_group_size: 1
    .uses_dynamic_stack: false
    .vgpr_count:     66
    .vgpr_spill_count: 0
    .wavefront_size: 32
    .workgroup_processor_mode: 1
amdhsa.target:   amdgcn-amd-amdhsa--gfx1030
amdhsa.version:
  - 1
  - 2
...

	.end_amdgpu_metadata
